;; amdgpu-corpus repo=ROCm/rocFFT kind=compiled arch=gfx906 opt=O3
	.text
	.amdgcn_target "amdgcn-amd-amdhsa--gfx906"
	.amdhsa_code_object_version 6
	.protected	fft_rtc_back_len243_factors_3_9_9_wgs_108_tpt_27_halfLds_dim1_dp_op_CI_CI_unitstride_sbrr_C2R_dirReg ; -- Begin function fft_rtc_back_len243_factors_3_9_9_wgs_108_tpt_27_halfLds_dim1_dp_op_CI_CI_unitstride_sbrr_C2R_dirReg
	.globl	fft_rtc_back_len243_factors_3_9_9_wgs_108_tpt_27_halfLds_dim1_dp_op_CI_CI_unitstride_sbrr_C2R_dirReg
	.p2align	8
	.type	fft_rtc_back_len243_factors_3_9_9_wgs_108_tpt_27_halfLds_dim1_dp_op_CI_CI_unitstride_sbrr_C2R_dirReg,@function
fft_rtc_back_len243_factors_3_9_9_wgs_108_tpt_27_halfLds_dim1_dp_op_CI_CI_unitstride_sbrr_C2R_dirReg: ; @fft_rtc_back_len243_factors_3_9_9_wgs_108_tpt_27_halfLds_dim1_dp_op_CI_CI_unitstride_sbrr_C2R_dirReg
; %bb.0:
	s_load_dwordx4 s[8:11], s[4:5], 0x18
	v_mul_u32_u24_e32 v2, 0x97c, v0
	v_lshrrev_b32_e32 v1, 16, v2
	v_lshl_add_u32 v4, s6, 2, v1
	v_mov_b32_e32 v5, 0
	s_waitcnt lgkmcnt(0)
	v_cmp_gt_u64_e32 vcc, s[10:11], v[4:5]
	v_cmp_le_u64_e64 s[0:1], s[10:11], v[4:5]
	s_movk_i32 s2, 0x97c
	v_bfe_u32 v2, v2, 16, 2
                                        ; implicit-def: $vgpr14
                                        ; implicit-def: $vgpr6
	s_and_saveexec_b64 s[6:7], s[0:1]
	s_xor_b64 s[0:1], exec, s[6:7]
; %bb.1:
	v_mul_u32_u24_sdwa v1, v0, s2 dst_sel:DWORD dst_unused:UNUSED_PAD src0_sel:WORD_0 src1_sel:DWORD
	v_mov_b32_e32 v3, 27
	v_mul_lo_u16_sdwa v1, v1, v3 dst_sel:DWORD dst_unused:UNUSED_PAD src0_sel:WORD_1 src1_sel:DWORD
	v_sub_u16_e32 v14, v0, v1
	v_sub_u16_e32 v6, v0, v1
                                        ; implicit-def: $vgpr1
                                        ; implicit-def: $vgpr0
; %bb.2:
	s_or_saveexec_b64 s[10:11], s[0:1]
	s_load_dwordx2 s[6:7], s[4:5], 0x0
	s_load_dwordx2 s[2:3], s[8:9], 0x8
	v_mul_u32_u24_e32 v2, 0xf4, v2
	v_lshlrev_b32_e32 v13, 4, v2
                                        ; implicit-def: $vgpr5
	s_xor_b64 exec, exec, s[10:11]
	s_cbranch_execz .LBB0_6
; %bb.3:
	s_load_dwordx2 s[0:1], s[4:5], 0x10
	s_load_dwordx2 s[8:9], s[4:5], 0x50
	v_mul_lo_u16_e32 v3, 27, v1
	v_sub_u16_e32 v14, v0, v3
	v_lshlrev_b32_e32 v3, 4, v14
	s_waitcnt lgkmcnt(0)
	s_load_dwordx2 s[0:1], s[0:1], 0x8
	s_waitcnt lgkmcnt(0)
	v_mad_u64_u32 v[5:6], s[12:13], s0, v4, 0
	v_mov_b32_e32 v1, v6
	v_mad_u64_u32 v[6:7], s[0:1], s1, v4, v[1:2]
	v_mov_b32_e32 v7, s9
	v_lshlrev_b64 v[0:1], 4, v[5:6]
	v_add_co_u32_e64 v0, s[0:1], s8, v0
	v_addc_co_u32_e64 v1, s[0:1], v7, v1, s[0:1]
	v_add_co_u32_e64 v43, s[0:1], v0, v3
	v_addc_co_u32_e64 v44, s[0:1], 0, v1, s[0:1]
	global_load_dwordx4 v[5:8], v[43:44], off
	global_load_dwordx4 v[9:12], v[43:44], off offset:432
	global_load_dwordx4 v[15:18], v[43:44], off offset:864
	;; [unrolled: 1-line block ×8, first 2 shown]
	v_add3_u32 v3, 0, v13, v3
	v_cmp_eq_u16_e64 s[0:1], 26, v14
	s_waitcnt vmcnt(8)
	ds_write_b128 v3, v[5:8]
	s_waitcnt vmcnt(7)
	ds_write_b128 v3, v[9:12] offset:432
	s_waitcnt vmcnt(6)
	ds_write_b128 v3, v[15:18] offset:864
	s_waitcnt vmcnt(5)
	ds_write_b128 v3, v[19:22] offset:1296
	s_waitcnt vmcnt(4)
	ds_write_b128 v3, v[23:26] offset:1728
	s_waitcnt vmcnt(3)
	ds_write_b128 v3, v[27:30] offset:2160
	s_waitcnt vmcnt(2)
	ds_write_b128 v3, v[31:34] offset:2592
	s_waitcnt vmcnt(1)
	ds_write_b128 v3, v[35:38] offset:3024
	s_waitcnt vmcnt(0)
	ds_write_b128 v3, v[39:42] offset:3456
	v_mov_b32_e32 v6, v14
	s_and_saveexec_b64 s[8:9], s[0:1]
	s_cbranch_execz .LBB0_5
; %bb.4:
	global_load_dwordx4 v[5:8], v[0:1], off offset:3888
	v_mov_b32_e32 v14, 26
	s_waitcnt vmcnt(0)
	ds_write_b128 v3, v[5:8] offset:3472
	v_mov_b32_e32 v6, 26
.LBB0_5:
	s_or_b64 exec, exec, s[8:9]
	v_mov_b32_e32 v5, v6
.LBB0_6:
	s_or_b64 exec, exec, s[10:11]
	v_lshl_add_u32 v11, v2, 4, 0
	v_lshlrev_b32_e32 v15, 4, v6
	v_add_u32_e32 v12, v11, v15
	s_waitcnt lgkmcnt(0)
	s_barrier
	v_sub_u32_e32 v16, v11, v15
	ds_read_b64 v[7:8], v12
	ds_read_b64 v[9:10], v16 offset:3888
	v_cmp_ne_u16_e64 s[0:1], 0, v14
	s_waitcnt lgkmcnt(0)
	v_add_f64 v[0:1], v[7:8], v[9:10]
	v_add_f64 v[2:3], v[7:8], -v[9:10]
	s_and_saveexec_b64 s[8:9], s[0:1]
	s_xor_b64 s[0:1], exec, s[8:9]
	s_cbranch_execz .LBB0_8
; %bb.7:
	v_mov_b32_e32 v0, 4
	v_lshlrev_b32_sdwa v0, v0, v14 dst_sel:DWORD dst_unused:UNUSED_PAD src0_sel:DWORD src1_sel:WORD_0
	global_load_dwordx4 v[17:20], v0, s[6:7] offset:3840
	ds_read_b64 v[0:1], v16 offset:3896
	ds_read_b64 v[2:3], v12 offset:8
	v_add_f64 v[21:22], v[7:8], v[9:10]
	v_add_f64 v[23:24], v[7:8], -v[9:10]
	s_waitcnt lgkmcnt(0)
	v_add_f64 v[7:8], v[0:1], v[2:3]
	v_add_f64 v[0:1], v[2:3], -v[0:1]
	s_waitcnt vmcnt(0)
	v_fma_f64 v[2:3], v[23:24], v[19:20], v[21:22]
	v_fma_f64 v[9:10], -v[23:24], v[19:20], v[21:22]
	v_fma_f64 v[21:22], v[7:8], v[19:20], -v[0:1]
	v_fma_f64 v[19:20], v[7:8], v[19:20], v[0:1]
	v_fma_f64 v[0:1], -v[7:8], v[17:18], v[2:3]
	v_fma_f64 v[7:8], v[7:8], v[17:18], v[9:10]
	v_fma_f64 v[9:10], v[23:24], v[17:18], v[21:22]
	;; [unrolled: 1-line block ×3, first 2 shown]
	ds_write_b128 v16, v[7:10] offset:3888
.LBB0_8:
	s_andn2_saveexec_b64 s[0:1], s[0:1]
	s_or_b64 exec, exec, s[0:1]
	v_mov_b32_e32 v7, 0
	s_add_u32 s0, s6, 0xf00
	v_lshlrev_b64 v[8:9], 4, v[6:7]
	s_addc_u32 s1, s7, 0
	v_mov_b32_e32 v10, s1
	v_add_co_u32_e64 v8, s[0:1], s0, v8
	v_addc_co_u32_e64 v9, s[0:1], v10, v9, s[0:1]
	global_load_dwordx4 v[17:20], v[8:9], off offset:432
	global_load_dwordx4 v[21:24], v[8:9], off offset:864
	ds_write_b128 v12, v[0:3]
	ds_read_b128 v[0:3], v12 offset:432
	ds_read_b128 v[25:28], v16 offset:3456
	global_load_dwordx4 v[29:32], v[8:9], off offset:1296
	v_cmp_gt_u16_e64 s[0:1], 14, v14
	s_waitcnt lgkmcnt(0)
	v_add_f64 v[33:34], v[0:1], v[25:26]
	v_add_f64 v[35:36], v[27:28], v[2:3]
	v_add_f64 v[37:38], v[0:1], -v[25:26]
	v_add_f64 v[0:1], v[2:3], -v[27:28]
	s_waitcnt vmcnt(2)
	v_fma_f64 v[2:3], v[37:38], v[19:20], v[33:34]
	v_fma_f64 v[25:26], v[35:36], v[19:20], v[0:1]
	v_fma_f64 v[27:28], -v[37:38], v[19:20], v[33:34]
	v_fma_f64 v[19:20], v[35:36], v[19:20], -v[0:1]
	v_fma_f64 v[0:1], -v[35:36], v[17:18], v[2:3]
	v_fma_f64 v[2:3], v[37:38], v[17:18], v[25:26]
	v_fma_f64 v[25:26], v[35:36], v[17:18], v[27:28]
	v_fma_f64 v[27:28], v[37:38], v[17:18], v[19:20]
	ds_write_b128 v12, v[0:3] offset:432
	ds_write_b128 v16, v[25:28] offset:3456
	ds_read_b128 v[0:3], v12 offset:864
	ds_read_b128 v[17:20], v16 offset:3024
	s_waitcnt lgkmcnt(0)
	v_add_f64 v[25:26], v[0:1], v[17:18]
	v_add_f64 v[27:28], v[19:20], v[2:3]
	v_add_f64 v[33:34], v[0:1], -v[17:18]
	v_add_f64 v[0:1], v[2:3], -v[19:20]
	s_waitcnt vmcnt(1)
	v_fma_f64 v[2:3], v[33:34], v[23:24], v[25:26]
	v_fma_f64 v[17:18], v[27:28], v[23:24], v[0:1]
	v_fma_f64 v[19:20], -v[33:34], v[23:24], v[25:26]
	v_fma_f64 v[23:24], v[27:28], v[23:24], -v[0:1]
	v_fma_f64 v[0:1], -v[27:28], v[21:22], v[2:3]
	v_fma_f64 v[2:3], v[33:34], v[21:22], v[17:18]
	v_fma_f64 v[17:18], v[27:28], v[21:22], v[19:20]
	;; [unrolled: 1-line block ×3, first 2 shown]
	ds_write_b128 v12, v[0:3] offset:864
	ds_write_b128 v16, v[17:20] offset:3024
	ds_read_b128 v[0:3], v12 offset:1296
	ds_read_b128 v[17:20], v16 offset:2592
	s_waitcnt lgkmcnt(0)
	v_add_f64 v[21:22], v[0:1], v[17:18]
	v_add_f64 v[23:24], v[19:20], v[2:3]
	v_add_f64 v[25:26], v[0:1], -v[17:18]
	v_add_f64 v[0:1], v[2:3], -v[19:20]
	s_waitcnt vmcnt(0)
	v_fma_f64 v[2:3], v[25:26], v[31:32], v[21:22]
	v_fma_f64 v[17:18], v[23:24], v[31:32], v[0:1]
	v_fma_f64 v[19:20], -v[25:26], v[31:32], v[21:22]
	v_fma_f64 v[21:22], v[23:24], v[31:32], -v[0:1]
	v_fma_f64 v[0:1], -v[23:24], v[29:30], v[2:3]
	v_fma_f64 v[2:3], v[25:26], v[29:30], v[17:18]
	v_fma_f64 v[17:18], v[23:24], v[29:30], v[19:20]
	;; [unrolled: 1-line block ×3, first 2 shown]
	ds_write_b128 v12, v[0:3] offset:1296
	ds_write_b128 v16, v[17:20] offset:2592
	s_and_saveexec_b64 s[8:9], s[0:1]
	s_cbranch_execz .LBB0_10
; %bb.9:
	global_load_dwordx4 v[0:3], v[8:9], off offset:1728
	ds_read_b128 v[17:20], v12 offset:1728
	ds_read_b128 v[21:24], v16 offset:2160
	s_waitcnt lgkmcnt(0)
	v_add_f64 v[8:9], v[17:18], v[21:22]
	v_add_f64 v[25:26], v[23:24], v[19:20]
	v_add_f64 v[27:28], v[17:18], -v[21:22]
	v_add_f64 v[17:18], v[19:20], -v[23:24]
	s_waitcnt vmcnt(0)
	v_fma_f64 v[19:20], v[27:28], v[2:3], v[8:9]
	v_fma_f64 v[21:22], v[25:26], v[2:3], v[17:18]
	v_fma_f64 v[8:9], -v[27:28], v[2:3], v[8:9]
	v_fma_f64 v[2:3], v[25:26], v[2:3], -v[17:18]
	v_fma_f64 v[17:18], -v[25:26], v[0:1], v[19:20]
	v_fma_f64 v[19:20], v[27:28], v[0:1], v[21:22]
	v_fma_f64 v[21:22], v[25:26], v[0:1], v[8:9]
	;; [unrolled: 1-line block ×3, first 2 shown]
	ds_write_b128 v12, v[17:20] offset:1728
	ds_write_b128 v16, v[21:24] offset:2160
.LBB0_10:
	s_or_b64 exec, exec, s[8:9]
	v_add3_u32 v0, 0, v15, v13
	s_waitcnt lgkmcnt(0)
	s_barrier
	s_barrier
	ds_read_b128 v[15:18], v0 offset:1296
	ds_read_b128 v[19:22], v12
	ds_read_b128 v[23:26], v0 offset:432
	ds_read_b128 v[27:30], v0 offset:864
	;; [unrolled: 1-line block ×6, first 2 shown]
	s_mov_b32 s10, 0xe8584caa
	s_waitcnt lgkmcnt(6)
	v_add_f64 v[1:2], v[19:20], v[15:16]
	v_add_f64 v[8:9], v[21:22], v[17:18]
	s_waitcnt lgkmcnt(3)
	v_add_f64 v[51:52], v[23:24], v[31:32]
	s_waitcnt lgkmcnt(2)
	v_add_f64 v[53:54], v[17:18], -v[37:38]
	v_add_f64 v[55:56], v[17:18], v[37:38]
	v_add_f64 v[57:58], v[15:16], -v[35:36]
	s_waitcnt lgkmcnt(0)
	v_add_f64 v[59:60], v[29:30], v[45:46]
	v_add_f64 v[61:62], v[33:34], -v[41:42]
	v_add_f64 v[47:48], v[1:2], v[35:36]
	v_add_f64 v[1:2], v[25:26], v[33:34]
	;; [unrolled: 1-line block ×6, first 2 shown]
	ds_read_b128 v[35:38], v0 offset:3456
	v_add_f64 v[63:64], v[31:32], -v[39:40]
	s_mov_b32 s11, 0xbfebb67a
	v_add_f64 v[17:18], v[1:2], v[41:42]
	v_add_f64 v[1:2], v[31:32], v[39:40]
	;; [unrolled: 1-line block ×3, first 2 shown]
	s_waitcnt lgkmcnt(0)
	v_add_f64 v[33:34], v[59:60], v[37:38]
	v_add_f64 v[31:32], v[51:52], v[35:36]
	v_add_f64 v[51:52], v[43:44], v[35:36]
	v_add_f64 v[59:60], v[45:46], -v[37:38]
	v_add_f64 v[45:46], v[45:46], v[37:38]
	v_add_f64 v[43:44], v[43:44], -v[35:36]
	v_fma_f64 v[8:9], v[8:9], -0.5, v[19:20]
	v_fma_f64 v[35:36], v[55:56], -0.5, v[21:22]
	;; [unrolled: 1-line block ×3, first 2 shown]
	s_mov_b32 s9, 0x3febb67a
	s_mov_b32 s8, s10
	v_fma_f64 v[41:42], v[41:42], -0.5, v[25:26]
	v_lshl_add_u32 v3, v6, 5, v0
	v_fma_f64 v[19:20], v[53:54], s[10:11], v[8:9]
	v_fma_f64 v[23:24], v[53:54], s[8:9], v[8:9]
	;; [unrolled: 1-line block ×6, first 2 shown]
	v_fma_f64 v[1:2], v[51:52], -0.5, v[27:28]
	v_fma_f64 v[8:9], v[45:46], -0.5, v[29:30]
	s_barrier
	ds_write_b128 v3, v[47:50]
	ds_write_b128 v3, v[19:22] offset:16
	v_fma_f64 v[37:38], v[63:64], s[8:9], v[41:42]
	v_fma_f64 v[41:42], v[63:64], s[10:11], v[41:42]
	ds_write_b128 v3, v[23:26] offset:32
	ds_write_b128 v3, v[15:18] offset:1296
	;; [unrolled: 1-line block ×5, first 2 shown]
	v_fma_f64 v[19:20], v[59:60], s[10:11], v[1:2]
	v_fma_f64 v[21:22], v[43:44], s[8:9], v[8:9]
	;; [unrolled: 1-line block ×4, first 2 shown]
	v_add_u32_e32 v3, 0x800, v3
	s_movk_i32 s0, 0xab
	ds_write2_b64 v3, v[19:20], v[21:22] offset0:70 offset1:71
	ds_write2_b64 v3, v[1:2], v[8:9] offset0:72 offset1:73
	v_mul_lo_u16_sdwa v1, v14, s0 dst_sel:DWORD dst_unused:UNUSED_PAD src0_sel:BYTE_0 src1_sel:DWORD
	v_lshrrev_b16_e32 v3, 9, v1
	v_mul_lo_u16_e32 v1, 3, v3
	v_sub_u16_e32 v10, v14, v1
	v_mov_b32_e32 v1, 7
	v_lshlrev_b32_sdwa v1, v1, v10 dst_sel:DWORD dst_unused:UNUSED_PAD src0_sel:DWORD src1_sel:BYTE_0
	s_waitcnt lgkmcnt(0)
	s_barrier
	global_load_dwordx4 v[14:17], v1, s[6:7]
	global_load_dwordx4 v[18:21], v1, s[6:7] offset:16
	global_load_dwordx4 v[22:25], v1, s[6:7] offset:32
	;; [unrolled: 1-line block ×7, first 2 shown]
	ds_read_b128 v[46:49], v0 offset:432
	ds_read_b128 v[50:53], v0 offset:864
	;; [unrolled: 1-line block ×4, first 2 shown]
	ds_read_b128 v[62:65], v12
	ds_read_b128 v[66:69], v0 offset:2592
	ds_read_b128 v[70:73], v0 offset:3024
	s_movk_i32 s0, 0x1b0
	v_mad_u32_u24 v3, v3, s0, 0
	s_mov_b32 s12, 0xa2cf5039
	s_mov_b32 s13, 0x3fe8836f
	s_mov_b32 s14, 0x7e0b738b
	s_mov_b32 s15, 0x3fc63a1a
	s_mov_b32 s24, 0x523c161c
	s_mov_b32 s18, 0x8c811c17
	s_mov_b32 s25, 0x3fe491b7
	s_mov_b32 s19, 0x3fef838b
	s_mov_b32 s21, 0xbfe491b7
	s_mov_b32 s20, s24
	s_mov_b32 s16, 0x42522d1b
	s_mov_b32 s17, 0xbfee11f6
	s_mov_b32 s8, 0xe8584cab
	s_mov_b32 s10, s8
	s_mov_b32 s22, 0x748a0bf8
	s_mov_b32 s23, 0x3fd5e3a8
	v_lshlrev_b32_e32 v6, 3, v6
	s_waitcnt vmcnt(7) lgkmcnt(6)
	v_mul_f64 v[1:2], v[48:49], v[16:17]
	v_mul_f64 v[8:9], v[46:47], v[16:17]
	s_waitcnt vmcnt(6) lgkmcnt(5)
	v_mul_f64 v[16:17], v[52:53], v[20:21]
	v_mul_f64 v[20:21], v[50:51], v[20:21]
	;; [unrolled: 3-line block ×3, first 2 shown]
	v_fma_f64 v[1:2], v[46:47], v[14:15], v[1:2]
	v_fma_f64 v[8:9], v[48:49], v[14:15], -v[8:9]
	s_waitcnt vmcnt(4) lgkmcnt(3)
	v_mul_f64 v[14:15], v[60:61], v[28:29]
	s_waitcnt vmcnt(3) lgkmcnt(0)
	v_mul_f64 v[46:47], v[72:73], v[32:33]
	v_mul_f64 v[32:33], v[70:71], v[32:33]
	;; [unrolled: 1-line block ×3, first 2 shown]
	v_fma_f64 v[48:49], v[50:51], v[18:19], v[16:17]
	v_fma_f64 v[50:51], v[52:53], v[18:19], -v[20:21]
	s_waitcnt vmcnt(2)
	v_mul_f64 v[16:17], v[68:69], v[36:37]
	v_mul_f64 v[18:19], v[66:67], v[36:37]
	v_fma_f64 v[36:37], v[58:59], v[26:27], v[14:15]
	v_fma_f64 v[46:47], v[70:71], v[30:31], v[46:47]
	;; [unrolled: 1-line block ×3, first 2 shown]
	v_fma_f64 v[26:27], v[60:61], v[26:27], -v[28:29]
	v_fma_f64 v[28:29], v[72:73], v[30:31], -v[32:33]
	v_fma_f64 v[22:23], v[56:57], v[22:23], -v[24:25]
	v_fma_f64 v[24:25], v[66:67], v[34:35], v[16:17]
	v_fma_f64 v[30:31], v[68:69], v[34:35], -v[18:19]
	v_add_f64 v[32:33], v[1:2], v[36:37]
	v_add_f64 v[34:35], v[48:49], v[46:47]
	ds_read_b128 v[14:17], v0 offset:1728
	ds_read_b128 v[18:21], v0 offset:2160
	v_add_f64 v[54:55], v[8:9], v[26:27]
	v_add_f64 v[56:57], v[50:51], v[28:29]
	;; [unrolled: 1-line block ×3, first 2 shown]
	s_waitcnt vmcnt(1) lgkmcnt(1)
	v_mul_f64 v[58:59], v[16:17], v[40:41]
	v_mul_f64 v[40:41], v[14:15], v[40:41]
	v_add_f64 v[66:67], v[34:35], v[32:33]
	v_add_f64 v[68:69], v[22:23], v[30:31]
	s_waitcnt vmcnt(0) lgkmcnt(0)
	v_mul_f64 v[72:73], v[20:21], v[44:45]
	v_mul_f64 v[44:45], v[18:19], v[44:45]
	v_add_f64 v[70:71], v[56:57], v[54:55]
	v_fma_f64 v[58:59], v[14:15], v[38:39], v[58:59]
	v_fma_f64 v[38:39], v[16:17], v[38:39], -v[40:41]
	v_add_f64 v[14:15], v[60:61], v[66:67]
	s_barrier
	v_fma_f64 v[18:19], v[18:19], v[42:43], v[72:73]
	v_fma_f64 v[20:21], v[20:21], v[42:43], -v[44:45]
	v_add_f64 v[16:17], v[68:69], v[70:71]
	v_mov_b32_e32 v72, 4
	v_lshlrev_b32_sdwa v10, v72, v10 dst_sel:DWORD dst_unused:UNUSED_PAD src0_sel:DWORD src1_sel:BYTE_0
	v_add3_u32 v3, v3, v10, v13
	v_add_f64 v[14:15], v[58:59], v[14:15]
	v_add_f64 v[40:41], v[58:59], v[18:19]
	v_add_f64 v[1:2], v[1:2], -v[36:37]
	v_add_f64 v[16:17], v[38:39], v[16:17]
	v_add_f64 v[8:9], v[8:9], -v[26:27]
	v_add_f64 v[36:37], v[48:49], -v[46:47]
	;; [unrolled: 1-line block ×3, first 2 shown]
	v_add_f64 v[13:14], v[18:19], v[14:15]
	v_add_f64 v[30:31], v[38:39], v[20:21]
	v_fma_f64 v[42:43], v[40:41], s[12:13], v[62:63]
	v_add_f64 v[28:29], v[50:51], -v[28:29]
	v_add_f64 v[15:16], v[20:21], v[16:17]
	v_add_f64 v[24:25], v[52:53], -v[24:25]
	v_add_f64 v[50:51], v[62:63], v[60:61]
	v_add_f64 v[52:53], v[64:65], v[68:69]
	;; [unrolled: 1-line block ×3, first 2 shown]
	v_fma_f64 v[26:27], v[32:33], s[14:15], v[42:43]
	v_fma_f64 v[42:43], v[32:33], s[12:13], v[62:63]
	v_add_f64 v[15:16], v[64:65], v[15:16]
	ds_write_b128 v3, v[13:16]
	v_add_f64 v[15:16], v[58:59], -v[18:19]
	v_fma_f64 v[13:14], v[60:61], -0.5, v[26:27]
	v_add_f64 v[17:18], v[38:39], -v[20:21]
	v_fma_f64 v[19:20], v[34:35], s[14:15], v[42:43]
	v_fma_f64 v[26:27], v[54:55], s[12:13], v[64:65]
	v_mul_f64 v[42:43], v[1:2], s[24:25]
	v_mul_f64 v[58:59], v[8:9], s[24:25]
	v_fma_f64 v[38:39], v[30:31], s[12:13], v[64:65]
	v_mul_f64 v[44:45], v[15:16], s[20:21]
	v_mul_f64 v[46:47], v[15:16], s[18:19]
	v_fma_f64 v[48:49], v[34:35], s[16:17], v[13:14]
	v_fma_f64 v[13:14], v[34:35], s[12:13], v[62:63]
	;; [unrolled: 1-line block ×5, first 2 shown]
	v_fma_f64 v[19:20], v[60:61], -0.5, v[19:20]
	v_fma_f64 v[44:45], v[1:2], s[18:19], v[44:45]
	v_fma_f64 v[46:47], v[36:37], s[20:21], -v[46:47]
	v_mul_f64 v[62:63], v[17:18], s[20:21]
	v_mul_f64 v[64:65], v[17:18], s[18:19]
	v_fma_f64 v[26:27], v[68:69], -0.5, v[26:27]
	v_fma_f64 v[34:35], v[24:25], s[8:9], v[34:35]
	v_fma_f64 v[13:14], v[40:41], s[14:15], v[13:14]
	;; [unrolled: 1-line block ×7, first 2 shown]
	v_fma_f64 v[62:63], v[28:29], s[20:21], -v[64:65]
	v_add_f64 v[64:65], v[40:41], v[66:67]
	v_fma_f64 v[40:41], v[30:31], s[16:17], v[26:27]
	v_add_f64 v[26:27], v[30:31], v[70:71]
	v_fma_f64 v[30:31], v[30:31], s[14:15], v[42:43]
	v_fma_f64 v[38:39], v[54:55], s[14:15], v[38:39]
	;; [unrolled: 1-line block ×6, first 2 shown]
	v_add_f64 v[15:16], v[15:16], v[1:2]
	v_fma_f64 v[1:2], v[1:2], s[22:23], v[24:25]
	v_fma_f64 v[23:24], v[60:61], -0.5, v[13:14]
	v_fma_f64 v[30:31], v[68:69], -0.5, v[30:31]
	v_fma_f64 v[34:35], v[17:18], s[22:23], v[46:47]
	v_add_f64 v[17:18], v[17:18], v[8:9]
	v_fma_f64 v[38:39], v[68:69], -0.5, v[38:39]
	v_fma_f64 v[8:9], v[8:9], s[22:23], v[21:22]
	v_fma_f64 v[42:43], v[28:29], s[22:23], v[42:43]
	v_add_f64 v[15:16], v[15:16], -v[36:37]
	v_fma_f64 v[45:46], v[36:37], s[22:23], v[44:45]
	v_add_f64 v[13:14], v[19:20], -v[34:35]
	v_fma_f64 v[19:20], v[32:33], s[16:17], v[23:24]
	v_fma_f64 v[23:24], v[54:55], s[16:17], v[30:31]
	v_add_f64 v[28:29], v[17:18], -v[28:29]
	v_fma_f64 v[30:31], v[64:65], -0.5, v[50:51]
	v_fma_f64 v[32:33], v[26:27], -0.5, v[52:53]
	v_fma_f64 v[36:37], v[56:57], s[16:17], v[38:39]
	v_add_f64 v[17:18], v[48:49], -v[42:43]
	v_add_f64 v[21:22], v[19:20], -v[8:9]
	v_add_f64 v[23:24], v[1:2], v[23:24]
	v_mul_f64 v[47:48], v[28:29], s[8:9]
	v_fma_f64 v[25:26], v[28:29], s[10:11], v[30:31]
	v_fma_f64 v[27:28], v[15:16], s[8:9], v[32:33]
	v_mul_f64 v[31:32], v[15:16], s[8:9]
	v_add_f64 v[19:20], v[45:46], v[36:37]
	v_add_f64 v[15:16], v[58:59], v[40:41]
	v_fma_f64 v[37:38], v[8:9], 2.0, v[21:22]
	v_fma_f64 v[39:40], v[1:2], -2.0, v[23:24]
	v_fma_f64 v[29:30], v[34:35], 2.0, v[13:14]
	v_fma_f64 v[33:34], v[42:43], 2.0, v[17:18]
	;; [unrolled: 1-line block ×3, first 2 shown]
	v_fma_f64 v[43:44], v[31:32], -2.0, v[27:28]
	v_fma_f64 v[35:36], v[45:46], -2.0, v[19:20]
	v_lshlrev_b64 v[1:2], 4, v[6:7]
	v_fma_f64 v[31:32], v[58:59], -2.0, v[15:16]
	ds_write_b128 v3, v[13:16] offset:48
	ds_write_b128 v3, v[17:20] offset:96
	;; [unrolled: 1-line block ×8, first 2 shown]
	v_mov_b32_e32 v3, s7
	v_add_co_u32_e64 v1, s[0:1], s6, v1
	v_addc_co_u32_e64 v2, s[0:1], v3, v2, s[0:1]
	s_waitcnt lgkmcnt(0)
	s_barrier
	global_load_dwordx4 v[6:9], v[1:2], off offset:384
	global_load_dwordx4 v[13:16], v[1:2], off offset:400
	;; [unrolled: 1-line block ×8, first 2 shown]
	ds_read_b128 v[41:44], v0 offset:432
	ds_read_b128 v[45:48], v12
	ds_read_b128 v[49:52], v0 offset:864
	s_waitcnt vmcnt(7) lgkmcnt(2)
	v_mul_f64 v[1:2], v[43:44], v[8:9]
	v_mul_f64 v[8:9], v[41:42], v[8:9]
	v_fma_f64 v[1:2], v[41:42], v[6:7], v[1:2]
	v_fma_f64 v[61:62], v[43:44], v[6:7], -v[8:9]
	ds_read_b128 v[6:9], v0 offset:1296
	ds_read_b128 v[41:44], v0 offset:3456
	;; [unrolled: 1-line block ×3, first 2 shown]
	s_waitcnt vmcnt(6) lgkmcnt(3)
	v_mul_f64 v[63:64], v[51:52], v[15:16]
	v_mul_f64 v[15:16], v[49:50], v[15:16]
	ds_read_b128 v[57:60], v0 offset:2592
	s_waitcnt vmcnt(4) lgkmcnt(2)
	v_mul_f64 v[67:68], v[43:44], v[23:24]
	s_waitcnt vmcnt(3) lgkmcnt(1)
	v_mul_f64 v[69:70], v[55:56], v[27:28]
	v_mul_f64 v[23:24], v[41:42], v[23:24]
	;; [unrolled: 1-line block ×5, first 2 shown]
	v_fma_f64 v[49:50], v[49:50], v[13:14], v[63:64]
	v_fma_f64 v[51:52], v[51:52], v[13:14], -v[15:16]
	s_waitcnt vmcnt(2) lgkmcnt(0)
	v_mul_f64 v[12:13], v[59:60], v[31:32]
	v_fma_f64 v[41:42], v[41:42], v[21:22], v[67:68]
	v_fma_f64 v[53:54], v[53:54], v[25:26], v[69:70]
	v_mul_f64 v[14:15], v[57:58], v[31:32]
	v_fma_f64 v[21:22], v[43:44], v[21:22], -v[23:24]
	v_fma_f64 v[23:24], v[55:56], v[25:26], -v[27:28]
	v_fma_f64 v[63:64], v[6:7], v[17:18], v[65:66]
	v_fma_f64 v[16:17], v[8:9], v[17:18], -v[19:20]
	v_fma_f64 v[18:19], v[57:58], v[29:30], v[12:13]
	v_add_f64 v[25:26], v[1:2], v[41:42]
	v_add_f64 v[27:28], v[49:50], v[53:54]
	v_fma_f64 v[29:30], v[59:60], v[29:30], -v[14:15]
	v_add_f64 v[31:32], v[61:62], v[21:22]
	v_add_f64 v[43:44], v[51:52], v[23:24]
	ds_read_b128 v[6:9], v0 offset:1728
	ds_read_b128 v[12:15], v0 offset:2160
	v_add_f64 v[57:58], v[63:64], v[18:19]
	v_add_f64 v[1:2], v[1:2], -v[41:42]
	v_add_f64 v[59:60], v[27:28], v[25:26]
	s_waitcnt vmcnt(1) lgkmcnt(1)
	v_mul_f64 v[55:56], v[8:9], v[35:36]
	v_mul_f64 v[35:36], v[6:7], v[35:36]
	v_add_f64 v[65:66], v[16:17], v[29:30]
	v_add_f64 v[67:68], v[43:44], v[31:32]
	s_waitcnt vmcnt(0) lgkmcnt(0)
	v_mul_f64 v[69:70], v[14:15], v[39:40]
	v_mul_f64 v[39:40], v[12:13], v[39:40]
	s_barrier
	v_fma_f64 v[55:56], v[6:7], v[33:34], v[55:56]
	v_add_f64 v[6:7], v[57:58], v[59:60]
	v_fma_f64 v[33:34], v[8:9], v[33:34], -v[35:36]
	v_add_f64 v[8:9], v[65:66], v[67:68]
	v_fma_f64 v[12:13], v[12:13], v[37:38], v[69:70]
	v_fma_f64 v[14:15], v[14:15], v[37:38], -v[39:40]
	v_add_f64 v[37:38], v[49:50], -v[53:54]
	v_mul_f64 v[39:40], v[1:2], s[24:25]
	v_add_f64 v[6:7], v[55:56], v[6:7]
	v_add_f64 v[18:19], v[63:64], -v[18:19]
	v_add_f64 v[8:9], v[33:34], v[8:9]
	v_add_f64 v[35:36], v[55:56], -v[12:13]
	v_add_f64 v[16:17], v[16:17], -v[29:30]
	v_fma_f64 v[49:50], v[31:32], s[12:13], v[47:48]
	v_fma_f64 v[39:40], v[37:38], s[18:19], v[39:40]
	v_add_f64 v[6:7], v[12:13], v[6:7]
	v_add_f64 v[12:13], v[55:56], v[12:13]
	;; [unrolled: 1-line block ×3, first 2 shown]
	v_mul_f64 v[41:42], v[35:36], s[20:21]
	v_add_f64 v[55:56], v[45:46], v[57:58]
	v_fma_f64 v[49:50], v[43:44], s[14:15], v[49:50]
	v_add_f64 v[6:7], v[45:46], v[6:7]
	v_add_f64 v[8:9], v[47:48], v[8:9]
	v_fma_f64 v[41:42], v[1:2], s[18:19], v[41:42]
	ds_write_b128 v0, v[6:9]
	v_mul_f64 v[6:7], v[35:36], s[18:19]
	v_add_f64 v[8:9], v[61:62], -v[21:22]
	v_add_f64 v[20:21], v[51:52], -v[23:24]
	v_fma_f64 v[22:23], v[18:19], s[8:9], v[39:40]
	v_fma_f64 v[29:30], v[18:19], s[10:11], v[41:42]
	v_add_f64 v[39:40], v[35:36], v[1:2]
	v_add_f64 v[41:42], v[33:34], -v[14:15]
	v_add_f64 v[14:15], v[33:34], v[14:15]
	v_fma_f64 v[6:7], v[37:38], s[20:21], -v[6:7]
	v_fma_f64 v[33:34], v[25:26], s[12:13], v[45:46]
	v_add_f64 v[61:62], v[47:48], v[65:66]
	v_fma_f64 v[51:52], v[35:36], s[22:23], v[22:23]
	v_fma_f64 v[53:54], v[37:38], s[22:23], v[29:30]
	v_add_f64 v[22:23], v[39:40], -v[37:38]
	v_mul_f64 v[29:30], v[8:9], s[24:25]
	v_mul_f64 v[35:36], v[41:42], s[20:21]
	;; [unrolled: 1-line block ×3, first 2 shown]
	v_fma_f64 v[18:19], v[18:19], s[8:9], v[6:7]
	v_fma_f64 v[6:7], v[27:28], s[14:15], v[33:34]
	;; [unrolled: 1-line block ×7, first 2 shown]
	v_fma_f64 v[37:38], v[20:21], s[20:21], -v[37:38]
	v_fma_f64 v[47:48], v[43:44], s[12:13], v[47:48]
	v_fma_f64 v[6:7], v[57:58], -0.5, v[6:7]
	v_fma_f64 v[33:34], v[25:26], s[14:15], v[33:34]
	v_fma_f64 v[39:40], v[31:32], s[14:15], v[39:40]
	;; [unrolled: 1-line block ×6, first 2 shown]
	v_fma_f64 v[37:38], v[65:66], -0.5, v[49:50]
	v_fma_f64 v[6:7], v[12:13], s[16:17], v[6:7]
	v_add_f64 v[49:50], v[12:13], v[59:60]
	v_fma_f64 v[12:13], v[12:13], s[14:15], v[45:46]
	v_fma_f64 v[45:46], v[14:15], s[14:15], v[47:48]
	;; [unrolled: 1-line block ×3, first 2 shown]
	v_add_f64 v[41:42], v[41:42], v[8:9]
	v_fma_f64 v[33:34], v[57:58], -0.5, v[33:34]
	v_fma_f64 v[37:38], v[14:15], s[16:17], v[37:38]
	v_add_f64 v[14:15], v[14:15], v[67:68]
	v_fma_f64 v[39:40], v[65:66], -0.5, v[39:40]
	v_fma_f64 v[12:13], v[57:58], -0.5, v[12:13]
	;; [unrolled: 1-line block ×3, first 2 shown]
	v_fma_f64 v[47:48], v[20:21], s[22:23], v[35:36]
	v_add_f64 v[20:21], v[41:42], -v[20:21]
	v_fma_f64 v[35:36], v[49:50], -0.5, v[55:56]
	v_fma_f64 v[41:42], v[8:9], s[22:23], v[16:17]
	v_fma_f64 v[14:15], v[14:15], -0.5, v[61:62]
	v_add_f64 v[6:7], v[6:7], -v[29:30]
	v_fma_f64 v[8:9], v[25:26], s[16:17], v[12:13]
	v_fma_f64 v[18:19], v[31:32], s[16:17], v[45:46]
	;; [unrolled: 1-line block ×4, first 2 shown]
	v_mul_f64 v[31:32], v[20:21], s[8:9]
	v_fma_f64 v[12:13], v[20:21], s[10:11], v[35:36]
	v_fma_f64 v[14:15], v[22:23], s[8:9], v[14:15]
	v_mul_f64 v[33:34], v[22:23], s[8:9]
	v_add_f64 v[16:17], v[8:9], -v[41:42]
	v_add_f64 v[18:19], v[1:2], v[18:19]
	v_add_f64 v[20:21], v[24:25], -v[47:48]
	v_add_f64 v[22:23], v[53:54], v[26:27]
	v_add_f64 v[8:9], v[51:52], v[37:38]
	v_fma_f64 v[24:25], v[29:30], 2.0, v[6:7]
	v_fma_f64 v[28:29], v[31:32], 2.0, v[12:13]
	v_fma_f64 v[30:31], v[33:34], -2.0, v[14:15]
	v_fma_f64 v[32:33], v[41:42], 2.0, v[16:17]
	v_fma_f64 v[34:35], v[1:2], -2.0, v[18:19]
	;; [unrolled: 2-line block ×3, first 2 shown]
	v_fma_f64 v[26:27], v[51:52], -2.0, v[8:9]
	ds_write_b128 v0, v[6:9] offset:432
	ds_write_b128 v0, v[20:23] offset:864
	;; [unrolled: 1-line block ×8, first 2 shown]
	s_waitcnt lgkmcnt(0)
	s_barrier
	s_and_saveexec_b64 s[0:1], vcc
	s_cbranch_execz .LBB0_12
; %bb.11:
	v_mad_u64_u32 v[7:8], s[0:1], s2, v4, 0
	s_load_dwordx2 s[0:1], s[4:5], 0x58
	v_mov_b32_e32 v6, 0
	v_mov_b32_e32 v0, v8
	v_mad_u64_u32 v[8:9], s[2:3], s3, v4, v[0:1]
	v_lshl_add_u32 v4, v5, 4, v11
	ds_read_b128 v[0:3], v4
	v_lshlrev_b64 v[7:8], 4, v[7:8]
	s_waitcnt lgkmcnt(0)
	v_mov_b32_e32 v9, s1
	v_add_co_u32_e32 v13, vcc, s0, v7
	v_addc_co_u32_e32 v14, vcc, v9, v8, vcc
	v_lshlrev_b64 v[7:8], 4, v[5:6]
	v_add_co_u32_e32 v11, vcc, v13, v7
	v_addc_co_u32_e32 v12, vcc, v14, v8, vcc
	ds_read_b128 v[7:10], v4 offset:432
	global_store_dwordx4 v[11:12], v[0:3], off
	s_nop 0
	v_add_u32_e32 v0, 27, v5
	v_mov_b32_e32 v1, v6
	v_lshlrev_b64 v[0:1], 4, v[0:1]
	v_add_co_u32_e32 v0, vcc, v13, v0
	v_addc_co_u32_e32 v1, vcc, v14, v1, vcc
	s_waitcnt lgkmcnt(0)
	global_store_dwordx4 v[0:1], v[7:10], off
	ds_read_b128 v[0:3], v4 offset:864
	v_add_u32_e32 v7, 54, v5
	v_mov_b32_e32 v8, v6
	v_lshlrev_b64 v[7:8], 4, v[7:8]
	v_add_co_u32_e32 v11, vcc, v13, v7
	v_addc_co_u32_e32 v12, vcc, v14, v8, vcc
	ds_read_b128 v[7:10], v4 offset:1296
	s_waitcnt lgkmcnt(1)
	global_store_dwordx4 v[11:12], v[0:3], off
	s_nop 0
	v_add_u32_e32 v0, 0x51, v5
	v_mov_b32_e32 v1, v6
	v_lshlrev_b64 v[0:1], 4, v[0:1]
	v_add_co_u32_e32 v0, vcc, v13, v0
	v_addc_co_u32_e32 v1, vcc, v14, v1, vcc
	s_waitcnt lgkmcnt(0)
	global_store_dwordx4 v[0:1], v[7:10], off
	ds_read_b128 v[0:3], v4 offset:1728
	v_add_u32_e32 v7, 0x6c, v5
	v_mov_b32_e32 v8, v6
	v_lshlrev_b64 v[7:8], 4, v[7:8]
	v_add_co_u32_e32 v11, vcc, v13, v7
	v_addc_co_u32_e32 v12, vcc, v14, v8, vcc
	ds_read_b128 v[7:10], v4 offset:2160
	s_waitcnt lgkmcnt(1)
	;; [unrolled: 17-line block ×3, first 2 shown]
	global_store_dwordx4 v[11:12], v[0:3], off
	s_nop 0
	v_add_u32_e32 v0, 0xbd, v5
	v_mov_b32_e32 v1, v6
	v_lshlrev_b64 v[0:1], 4, v[0:1]
	v_add_u32_e32 v5, 0xd8, v5
	v_add_co_u32_e32 v0, vcc, v13, v0
	v_addc_co_u32_e32 v1, vcc, v14, v1, vcc
	s_waitcnt lgkmcnt(0)
	global_store_dwordx4 v[0:1], v[7:10], off
	ds_read_b128 v[0:3], v4 offset:3456
	v_lshlrev_b64 v[4:5], 4, v[5:6]
	v_add_co_u32_e32 v4, vcc, v13, v4
	v_addc_co_u32_e32 v5, vcc, v14, v5, vcc
	s_waitcnt lgkmcnt(0)
	global_store_dwordx4 v[4:5], v[0:3], off
.LBB0_12:
	s_endpgm
	.section	.rodata,"a",@progbits
	.p2align	6, 0x0
	.amdhsa_kernel fft_rtc_back_len243_factors_3_9_9_wgs_108_tpt_27_halfLds_dim1_dp_op_CI_CI_unitstride_sbrr_C2R_dirReg
		.amdhsa_group_segment_fixed_size 0
		.amdhsa_private_segment_fixed_size 0
		.amdhsa_kernarg_size 96
		.amdhsa_user_sgpr_count 6
		.amdhsa_user_sgpr_private_segment_buffer 1
		.amdhsa_user_sgpr_dispatch_ptr 0
		.amdhsa_user_sgpr_queue_ptr 0
		.amdhsa_user_sgpr_kernarg_segment_ptr 1
		.amdhsa_user_sgpr_dispatch_id 0
		.amdhsa_user_sgpr_flat_scratch_init 0
		.amdhsa_user_sgpr_private_segment_size 0
		.amdhsa_uses_dynamic_stack 0
		.amdhsa_system_sgpr_private_segment_wavefront_offset 0
		.amdhsa_system_sgpr_workgroup_id_x 1
		.amdhsa_system_sgpr_workgroup_id_y 0
		.amdhsa_system_sgpr_workgroup_id_z 0
		.amdhsa_system_sgpr_workgroup_info 0
		.amdhsa_system_vgpr_workitem_id 0
		.amdhsa_next_free_vgpr 76
		.amdhsa_next_free_sgpr 26
		.amdhsa_reserve_vcc 1
		.amdhsa_reserve_flat_scratch 0
		.amdhsa_float_round_mode_32 0
		.amdhsa_float_round_mode_16_64 0
		.amdhsa_float_denorm_mode_32 3
		.amdhsa_float_denorm_mode_16_64 3
		.amdhsa_dx10_clamp 1
		.amdhsa_ieee_mode 1
		.amdhsa_fp16_overflow 0
		.amdhsa_exception_fp_ieee_invalid_op 0
		.amdhsa_exception_fp_denorm_src 0
		.amdhsa_exception_fp_ieee_div_zero 0
		.amdhsa_exception_fp_ieee_overflow 0
		.amdhsa_exception_fp_ieee_underflow 0
		.amdhsa_exception_fp_ieee_inexact 0
		.amdhsa_exception_int_div_zero 0
	.end_amdhsa_kernel
	.text
.Lfunc_end0:
	.size	fft_rtc_back_len243_factors_3_9_9_wgs_108_tpt_27_halfLds_dim1_dp_op_CI_CI_unitstride_sbrr_C2R_dirReg, .Lfunc_end0-fft_rtc_back_len243_factors_3_9_9_wgs_108_tpt_27_halfLds_dim1_dp_op_CI_CI_unitstride_sbrr_C2R_dirReg
                                        ; -- End function
	.section	.AMDGPU.csdata,"",@progbits
; Kernel info:
; codeLenInByte = 5316
; NumSgprs: 30
; NumVgprs: 76
; ScratchSize: 0
; MemoryBound: 0
; FloatMode: 240
; IeeeMode: 1
; LDSByteSize: 0 bytes/workgroup (compile time only)
; SGPRBlocks: 3
; VGPRBlocks: 18
; NumSGPRsForWavesPerEU: 30
; NumVGPRsForWavesPerEU: 76
; Occupancy: 3
; WaveLimiterHint : 1
; COMPUTE_PGM_RSRC2:SCRATCH_EN: 0
; COMPUTE_PGM_RSRC2:USER_SGPR: 6
; COMPUTE_PGM_RSRC2:TRAP_HANDLER: 0
; COMPUTE_PGM_RSRC2:TGID_X_EN: 1
; COMPUTE_PGM_RSRC2:TGID_Y_EN: 0
; COMPUTE_PGM_RSRC2:TGID_Z_EN: 0
; COMPUTE_PGM_RSRC2:TIDIG_COMP_CNT: 0
	.type	__hip_cuid_50375d37e3ed3823,@object ; @__hip_cuid_50375d37e3ed3823
	.section	.bss,"aw",@nobits
	.globl	__hip_cuid_50375d37e3ed3823
__hip_cuid_50375d37e3ed3823:
	.byte	0                               ; 0x0
	.size	__hip_cuid_50375d37e3ed3823, 1

	.ident	"AMD clang version 19.0.0git (https://github.com/RadeonOpenCompute/llvm-project roc-6.4.0 25133 c7fe45cf4b819c5991fe208aaa96edf142730f1d)"
	.section	".note.GNU-stack","",@progbits
	.addrsig
	.addrsig_sym __hip_cuid_50375d37e3ed3823
	.amdgpu_metadata
---
amdhsa.kernels:
  - .args:
      - .actual_access:  read_only
        .address_space:  global
        .offset:         0
        .size:           8
        .value_kind:     global_buffer
      - .actual_access:  read_only
        .address_space:  global
        .offset:         8
        .size:           8
        .value_kind:     global_buffer
      - .actual_access:  read_only
        .address_space:  global
        .offset:         16
        .size:           8
        .value_kind:     global_buffer
      - .actual_access:  read_only
        .address_space:  global
        .offset:         24
        .size:           8
        .value_kind:     global_buffer
      - .offset:         32
        .size:           8
        .value_kind:     by_value
      - .actual_access:  read_only
        .address_space:  global
        .offset:         40
        .size:           8
        .value_kind:     global_buffer
      - .actual_access:  read_only
        .address_space:  global
        .offset:         48
        .size:           8
        .value_kind:     global_buffer
      - .offset:         56
        .size:           4
        .value_kind:     by_value
      - .actual_access:  read_only
        .address_space:  global
        .offset:         64
        .size:           8
        .value_kind:     global_buffer
      - .actual_access:  read_only
        .address_space:  global
        .offset:         72
        .size:           8
        .value_kind:     global_buffer
      - .actual_access:  read_only
        .address_space:  global
        .offset:         80
        .size:           8
        .value_kind:     global_buffer
      - .actual_access:  write_only
        .address_space:  global
        .offset:         88
        .size:           8
        .value_kind:     global_buffer
    .group_segment_fixed_size: 0
    .kernarg_segment_align: 8
    .kernarg_segment_size: 96
    .language:       OpenCL C
    .language_version:
      - 2
      - 0
    .max_flat_workgroup_size: 108
    .name:           fft_rtc_back_len243_factors_3_9_9_wgs_108_tpt_27_halfLds_dim1_dp_op_CI_CI_unitstride_sbrr_C2R_dirReg
    .private_segment_fixed_size: 0
    .sgpr_count:     30
    .sgpr_spill_count: 0
    .symbol:         fft_rtc_back_len243_factors_3_9_9_wgs_108_tpt_27_halfLds_dim1_dp_op_CI_CI_unitstride_sbrr_C2R_dirReg.kd
    .uniform_work_group_size: 1
    .uses_dynamic_stack: false
    .vgpr_count:     76
    .vgpr_spill_count: 0
    .wavefront_size: 64
amdhsa.target:   amdgcn-amd-amdhsa--gfx906
amdhsa.version:
  - 1
  - 2
...

	.end_amdgpu_metadata
